;; amdgpu-corpus repo=ROCm/rocFFT kind=compiled arch=gfx906 opt=O3
	.text
	.amdgcn_target "amdgcn-amd-amdhsa--gfx906"
	.amdhsa_code_object_version 6
	.protected	fft_rtc_back_len288_factors_6_6_4_2_wgs_120_tpt_24_halfLds_half_op_CI_CI_unitstride_sbrr_R2C_dirReg ; -- Begin function fft_rtc_back_len288_factors_6_6_4_2_wgs_120_tpt_24_halfLds_half_op_CI_CI_unitstride_sbrr_R2C_dirReg
	.globl	fft_rtc_back_len288_factors_6_6_4_2_wgs_120_tpt_24_halfLds_half_op_CI_CI_unitstride_sbrr_R2C_dirReg
	.p2align	8
	.type	fft_rtc_back_len288_factors_6_6_4_2_wgs_120_tpt_24_halfLds_half_op_CI_CI_unitstride_sbrr_R2C_dirReg,@function
fft_rtc_back_len288_factors_6_6_4_2_wgs_120_tpt_24_halfLds_half_op_CI_CI_unitstride_sbrr_R2C_dirReg: ; @fft_rtc_back_len288_factors_6_6_4_2_wgs_120_tpt_24_halfLds_half_op_CI_CI_unitstride_sbrr_R2C_dirReg
; %bb.0:
	v_mul_u32_u24_e32 v1, 0xaab, v0
	s_load_dwordx4 s[8:11], s[4:5], 0x58
	s_load_dwordx4 s[12:15], s[4:5], 0x0
	;; [unrolled: 1-line block ×3, first 2 shown]
	v_lshrrev_b32_e32 v1, 16, v1
	v_mad_u64_u32 v[5:6], s[0:1], s6, 5, v[1:2]
	v_mov_b32_e32 v7, 0
	s_waitcnt lgkmcnt(0)
	v_cmp_lt_u64_e64 s[0:1], s[14:15], 2
	v_mov_b32_e32 v17, 0
	v_mov_b32_e32 v6, v7
	;; [unrolled: 1-line block ×5, first 2 shown]
	s_and_b64 vcc, exec, s[0:1]
	v_mov_b32_e32 v2, v18
	v_mov_b32_e32 v4, v6
	s_cbranch_vccnz .LBB0_8
; %bb.1:
	s_load_dwordx2 s[0:1], s[4:5], 0x10
	s_add_u32 s2, s18, 8
	s_addc_u32 s3, s19, 0
	s_add_u32 s6, s16, 8
	s_addc_u32 s7, s17, 0
	v_mov_b32_e32 v17, 0
	s_waitcnt lgkmcnt(0)
	s_add_u32 s20, s0, 8
	v_mov_b32_e32 v18, 0
	v_mov_b32_e32 v1, v17
	;; [unrolled: 1-line block ×3, first 2 shown]
	s_addc_u32 s21, s1, 0
	s_mov_b64 s[22:23], 1
	v_mov_b32_e32 v2, v18
	v_mov_b32_e32 v9, v5
.LBB0_2:                                ; =>This Inner Loop Header: Depth=1
	s_load_dwordx2 s[24:25], s[20:21], 0x0
                                        ; implicit-def: $vgpr3_vgpr4
	s_waitcnt lgkmcnt(0)
	v_or_b32_e32 v8, s25, v10
	v_cmp_ne_u64_e32 vcc, 0, v[7:8]
	s_and_saveexec_b64 s[0:1], vcc
	s_xor_b64 s[26:27], exec, s[0:1]
	s_cbranch_execz .LBB0_4
; %bb.3:                                ;   in Loop: Header=BB0_2 Depth=1
	v_cvt_f32_u32_e32 v3, s24
	v_cvt_f32_u32_e32 v4, s25
	s_sub_u32 s0, 0, s24
	s_subb_u32 s1, 0, s25
	v_mac_f32_e32 v3, 0x4f800000, v4
	v_rcp_f32_e32 v3, v3
	v_mul_f32_e32 v3, 0x5f7ffffc, v3
	v_mul_f32_e32 v4, 0x2f800000, v3
	v_trunc_f32_e32 v4, v4
	v_mac_f32_e32 v3, 0xcf800000, v4
	v_cvt_u32_f32_e32 v4, v4
	v_cvt_u32_f32_e32 v3, v3
	v_mul_lo_u32 v6, s0, v4
	v_mul_hi_u32 v8, s0, v3
	v_mul_lo_u32 v12, s1, v3
	v_mul_lo_u32 v11, s0, v3
	v_add_u32_e32 v6, v8, v6
	v_add_u32_e32 v6, v6, v12
	v_mul_hi_u32 v8, v3, v11
	v_mul_lo_u32 v12, v3, v6
	v_mul_hi_u32 v14, v3, v6
	v_mul_hi_u32 v13, v4, v11
	v_mul_lo_u32 v11, v4, v11
	v_mul_hi_u32 v15, v4, v6
	v_add_co_u32_e32 v8, vcc, v8, v12
	v_addc_co_u32_e32 v12, vcc, 0, v14, vcc
	v_mul_lo_u32 v6, v4, v6
	v_add_co_u32_e32 v8, vcc, v8, v11
	v_addc_co_u32_e32 v8, vcc, v12, v13, vcc
	v_addc_co_u32_e32 v11, vcc, 0, v15, vcc
	v_add_co_u32_e32 v6, vcc, v8, v6
	v_addc_co_u32_e32 v8, vcc, 0, v11, vcc
	v_add_co_u32_e32 v3, vcc, v3, v6
	v_addc_co_u32_e32 v4, vcc, v4, v8, vcc
	v_mul_lo_u32 v6, s0, v4
	v_mul_hi_u32 v8, s0, v3
	v_mul_lo_u32 v11, s1, v3
	v_mul_lo_u32 v12, s0, v3
	v_add_u32_e32 v6, v8, v6
	v_add_u32_e32 v6, v6, v11
	v_mul_lo_u32 v13, v3, v6
	v_mul_hi_u32 v14, v3, v12
	v_mul_hi_u32 v15, v3, v6
	;; [unrolled: 1-line block ×3, first 2 shown]
	v_mul_lo_u32 v12, v4, v12
	v_mul_hi_u32 v8, v4, v6
	v_add_co_u32_e32 v13, vcc, v14, v13
	v_addc_co_u32_e32 v14, vcc, 0, v15, vcc
	v_mul_lo_u32 v6, v4, v6
	v_add_co_u32_e32 v12, vcc, v13, v12
	v_addc_co_u32_e32 v11, vcc, v14, v11, vcc
	v_addc_co_u32_e32 v8, vcc, 0, v8, vcc
	v_add_co_u32_e32 v6, vcc, v11, v6
	v_addc_co_u32_e32 v8, vcc, 0, v8, vcc
	v_add_co_u32_e32 v6, vcc, v3, v6
	v_addc_co_u32_e32 v8, vcc, v4, v8, vcc
	v_mad_u64_u32 v[3:4], s[0:1], v9, v8, 0
	v_mul_hi_u32 v11, v9, v6
	v_add_co_u32_e32 v13, vcc, v11, v3
	v_addc_co_u32_e32 v14, vcc, 0, v4, vcc
	v_mad_u64_u32 v[3:4], s[0:1], v10, v6, 0
	v_mad_u64_u32 v[11:12], s[0:1], v10, v8, 0
	v_add_co_u32_e32 v3, vcc, v13, v3
	v_addc_co_u32_e32 v3, vcc, v14, v4, vcc
	v_addc_co_u32_e32 v4, vcc, 0, v12, vcc
	v_add_co_u32_e32 v6, vcc, v3, v11
	v_addc_co_u32_e32 v8, vcc, 0, v4, vcc
	v_mul_lo_u32 v11, s25, v6
	v_mul_lo_u32 v12, s24, v8
	v_mad_u64_u32 v[3:4], s[0:1], s24, v6, 0
	v_add3_u32 v4, v4, v12, v11
	v_sub_u32_e32 v11, v10, v4
	v_mov_b32_e32 v12, s25
	v_sub_co_u32_e32 v3, vcc, v9, v3
	v_subb_co_u32_e64 v11, s[0:1], v11, v12, vcc
	v_subrev_co_u32_e64 v12, s[0:1], s24, v3
	v_subbrev_co_u32_e64 v11, s[0:1], 0, v11, s[0:1]
	v_cmp_le_u32_e64 s[0:1], s25, v11
	v_cndmask_b32_e64 v13, 0, -1, s[0:1]
	v_cmp_le_u32_e64 s[0:1], s24, v12
	v_cndmask_b32_e64 v12, 0, -1, s[0:1]
	v_cmp_eq_u32_e64 s[0:1], s25, v11
	v_cndmask_b32_e64 v11, v13, v12, s[0:1]
	v_add_co_u32_e64 v12, s[0:1], 2, v6
	v_addc_co_u32_e64 v13, s[0:1], 0, v8, s[0:1]
	v_add_co_u32_e64 v14, s[0:1], 1, v6
	v_addc_co_u32_e64 v15, s[0:1], 0, v8, s[0:1]
	v_subb_co_u32_e32 v4, vcc, v10, v4, vcc
	v_cmp_ne_u32_e64 s[0:1], 0, v11
	v_cmp_le_u32_e32 vcc, s25, v4
	v_cndmask_b32_e64 v11, v15, v13, s[0:1]
	v_cndmask_b32_e64 v13, 0, -1, vcc
	v_cmp_le_u32_e32 vcc, s24, v3
	v_cndmask_b32_e64 v3, 0, -1, vcc
	v_cmp_eq_u32_e32 vcc, s25, v4
	v_cndmask_b32_e32 v3, v13, v3, vcc
	v_cmp_ne_u32_e32 vcc, 0, v3
	v_cndmask_b32_e64 v3, v14, v12, s[0:1]
	v_cndmask_b32_e32 v4, v8, v11, vcc
	v_cndmask_b32_e32 v3, v6, v3, vcc
.LBB0_4:                                ;   in Loop: Header=BB0_2 Depth=1
	s_andn2_saveexec_b64 s[0:1], s[26:27]
	s_cbranch_execz .LBB0_6
; %bb.5:                                ;   in Loop: Header=BB0_2 Depth=1
	v_cvt_f32_u32_e32 v3, s24
	s_sub_i32 s26, 0, s24
	v_rcp_iflag_f32_e32 v3, v3
	v_mul_f32_e32 v3, 0x4f7ffffe, v3
	v_cvt_u32_f32_e32 v3, v3
	v_mul_lo_u32 v4, s26, v3
	v_mul_hi_u32 v4, v3, v4
	v_add_u32_e32 v3, v3, v4
	v_mul_hi_u32 v3, v9, v3
	v_mul_lo_u32 v4, v3, s24
	v_add_u32_e32 v6, 1, v3
	v_sub_u32_e32 v4, v9, v4
	v_subrev_u32_e32 v8, s24, v4
	v_cmp_le_u32_e32 vcc, s24, v4
	v_cndmask_b32_e32 v4, v4, v8, vcc
	v_cndmask_b32_e32 v3, v3, v6, vcc
	v_add_u32_e32 v6, 1, v3
	v_cmp_le_u32_e32 vcc, s24, v4
	v_cndmask_b32_e32 v3, v3, v6, vcc
	v_mov_b32_e32 v4, v7
.LBB0_6:                                ;   in Loop: Header=BB0_2 Depth=1
	s_or_b64 exec, exec, s[0:1]
	v_mul_lo_u32 v6, v4, s24
	v_mul_lo_u32 v8, v3, s25
	v_mad_u64_u32 v[11:12], s[0:1], v3, s24, 0
	s_load_dwordx2 s[0:1], s[6:7], 0x0
	s_load_dwordx2 s[24:25], s[2:3], 0x0
	v_add3_u32 v6, v12, v8, v6
	v_sub_co_u32_e32 v8, vcc, v9, v11
	v_subb_co_u32_e32 v6, vcc, v10, v6, vcc
	s_waitcnt lgkmcnt(0)
	v_mul_lo_u32 v9, s0, v6
	v_mul_lo_u32 v10, s1, v8
	v_mad_u64_u32 v[17:18], s[0:1], s0, v8, v[17:18]
	s_add_u32 s22, s22, 1
	s_addc_u32 s23, s23, 0
	s_add_u32 s2, s2, 8
	v_mul_lo_u32 v6, s24, v6
	v_mul_lo_u32 v11, s25, v8
	v_mad_u64_u32 v[1:2], s[0:1], s24, v8, v[1:2]
	v_add3_u32 v18, v10, v18, v9
	s_addc_u32 s3, s3, 0
	v_mov_b32_e32 v8, s14
	s_add_u32 s6, s6, 8
	v_mov_b32_e32 v9, s15
	s_addc_u32 s7, s7, 0
	v_cmp_ge_u64_e32 vcc, s[22:23], v[8:9]
	s_add_u32 s20, s20, 8
	v_add3_u32 v2, v11, v2, v6
	s_addc_u32 s21, s21, 0
	s_cbranch_vccnz .LBB0_8
; %bb.7:                                ;   in Loop: Header=BB0_2 Depth=1
	v_mov_b32_e32 v10, v4
	v_mov_b32_e32 v9, v3
	s_branch .LBB0_2
.LBB0_8:
	s_mov_b32 s2, 0xcccccccd
	s_load_dwordx2 s[0:1], s[4:5], 0x28
	v_mul_hi_u32 v6, v5, s2
	s_lshl_b64 s[6:7], s[14:15], 3
	s_add_u32 s2, s18, s6
	s_addc_u32 s3, s19, s7
	v_lshrrev_b32_e32 v6, 2, v6
	v_lshl_add_u32 v6, v6, 2, v6
	s_waitcnt lgkmcnt(0)
	v_cmp_gt_u64_e32 vcc, s[0:1], v[3:4]
	v_cmp_le_u64_e64 s[0:1], s[0:1], v[3:4]
	v_sub_u32_e32 v19, v5, v6
                                        ; implicit-def: $vgpr5
                                        ; implicit-def: $vgpr7
                                        ; implicit-def: $vgpr15
                                        ; implicit-def: $vgpr11
                                        ; implicit-def: $vgpr13
                                        ; implicit-def: $vgpr9
	s_and_saveexec_b64 s[4:5], s[0:1]
	s_xor_b64 s[0:1], exec, s[4:5]
	s_cbranch_execz .LBB0_10
; %bb.9:
	s_mov_b32 s4, 0xaaaaaab
	v_mul_hi_u32 v5, v0, s4
	v_mov_b32_e32 v6, 0
	v_mov_b32_e32 v8, v6
	;; [unrolled: 1-line block ×3, first 2 shown]
	v_mul_u32_u24_e32 v5, 24, v5
	v_sub_u32_e32 v5, v0, v5
	v_add_u32_e32 v7, 24, v5
	v_add_u32_e32 v15, 48, v5
	v_or_b32_e32 v11, 0x60, v5
	v_add_u32_e32 v13, 0x48, v5
	v_add_u32_e32 v9, 0x78, v5
	v_mov_b32_e32 v14, v6
	v_mov_b32_e32 v12, v6
	;; [unrolled: 1-line block ×3, first 2 shown]
                                        ; implicit-def: $vgpr0
                                        ; implicit-def: $vgpr17_vgpr18
.LBB0_10:
	s_or_saveexec_b64 s[4:5], s[0:1]
	v_mul_u32_u24_e32 v19, 0x121, v19
	v_lshlrev_b32_e32 v19, 2, v19
	s_xor_b64 exec, exec, s[4:5]
	s_cbranch_execz .LBB0_12
; %bb.11:
	s_add_u32 s0, s16, s6
	s_addc_u32 s1, s17, s7
	s_load_dwordx2 s[0:1], s[0:1], 0x0
	s_mov_b32 s6, 0xaaaaaab
	v_mul_hi_u32 v5, v0, s6
	s_waitcnt lgkmcnt(0)
	v_mul_lo_u32 v8, s1, v3
	v_mul_lo_u32 v9, s0, v4
	v_mad_u64_u32 v[6:7], s[0:1], s0, v3, 0
	v_mul_u32_u24_e32 v5, 24, v5
	v_sub_u32_e32 v5, v0, v5
	v_add3_u32 v7, v7, v9, v8
	v_lshlrev_b64 v[6:7], 2, v[6:7]
	v_mov_b32_e32 v0, s9
	v_add_co_u32_e64 v8, s[0:1], s8, v6
	v_addc_co_u32_e64 v0, s[0:1], v0, v7, s[0:1]
	v_lshlrev_b64 v[6:7], 2, v[17:18]
	v_lshlrev_b32_e32 v17, 2, v5
	v_add_co_u32_e64 v6, s[0:1], v8, v6
	v_addc_co_u32_e64 v0, s[0:1], v0, v7, s[0:1]
	v_add_co_u32_e64 v6, s[0:1], v6, v17
	v_addc_co_u32_e64 v7, s[0:1], 0, v0, s[0:1]
	global_load_dword v0, v[6:7], off
	global_load_dword v18, v[6:7], off offset:96
	global_load_dword v20, v[6:7], off offset:192
	;; [unrolled: 1-line block ×11, first 2 shown]
	v_mov_b32_e32 v6, 0
	v_mov_b32_e32 v8, v6
	;; [unrolled: 1-line block ×6, first 2 shown]
	v_add_u32_e32 v7, 24, v5
	v_add_u32_e32 v15, 48, v5
	;; [unrolled: 1-line block ×3, first 2 shown]
	v_or_b32_e32 v11, 0x60, v5
	v_add_u32_e32 v9, 0x78, v5
	v_add3_u32 v17, 0, v19, v17
	v_add_u32_e32 v30, 0x200, v17
	s_waitcnt vmcnt(10)
	ds_write2_b32 v17, v0, v18 offset1:24
	s_waitcnt vmcnt(8)
	ds_write2_b32 v17, v20, v21 offset0:48 offset1:72
	s_waitcnt vmcnt(6)
	ds_write2_b32 v17, v22, v23 offset0:96 offset1:120
	;; [unrolled: 2-line block ×5, first 2 shown]
.LBB0_12:
	s_or_b64 exec, exec, s[4:5]
	v_lshlrev_b32_e32 v22, 2, v5
	v_add3_u32 v23, 0, v22, v19
	s_load_dwordx2 s[2:3], s[2:3], 0x0
	s_waitcnt lgkmcnt(0)
	s_barrier
	v_add_u32_e32 v0, 0, v19
	ds_read2_b32 v[17:18], v23 offset0:72 offset1:96
	ds_read2_b32 v[24:25], v23 offset0:168 offset1:192
	v_add_u32_e32 v21, v0, v22
	ds_read_b32 v20, v21
	ds_read2_b32 v[26:27], v23 offset0:120 offset1:144
	ds_read_b32 v32, v23 offset:1056
	s_movk_i32 s0, 0x3aee
	s_waitcnt lgkmcnt(3)
	v_pk_add_f16 v28, v18, v25
	s_waitcnt lgkmcnt(2)
	v_pk_fma_f16 v33, v28, 0.5, v20 op_sel_hi:[1,0,1] neg_lo:[1,0,0] neg_hi:[1,0,0]
	ds_read2_b32 v[28:29], v23 offset0:216 offset1:240
	ds_read2_b32 v[30:31], v23 offset0:24 offset1:48
	v_pk_add_f16 v34, v18, v25 neg_lo:[0,1] neg_hi:[0,1]
	v_pk_fma_f16 v35, v34, s0, v33 op_sel:[0,0,1] op_sel_hi:[1,0,0] neg_lo:[1,0,0] neg_hi:[1,0,0]
	v_pk_fma_f16 v33, v34, s0, v33 op_sel:[0,0,1] op_sel_hi:[1,0,0]
	s_waitcnt lgkmcnt(1)
	v_pk_add_f16 v34, v27, v29
	s_waitcnt lgkmcnt(0)
	v_pk_fma_f16 v34, v34, 0.5, v31 op_sel_hi:[1,0,1] neg_lo:[1,0,0] neg_hi:[1,0,0]
	v_pk_add_f16 v36, v27, v29 neg_lo:[0,1] neg_hi:[0,1]
	v_pk_fma_f16 v37, v36, s0, v34 op_sel:[0,0,1] op_sel_hi:[1,0,0]
	v_pk_fma_f16 v34, v36, s0, v34 op_sel:[0,0,1] op_sel_hi:[1,0,0] neg_lo:[1,0,0] neg_hi:[1,0,0]
	v_lshrrev_b32_e32 v36, 16, v34
	v_mul_f16_e32 v38, 0xbaee, v37
	v_fma_f16 v36, v36, 0.5, v38
	s_mov_b32 s1, 0xb8003800
	v_pk_mul_f16 v38, v34, s0 op_sel_hi:[1,0]
	v_pk_fma_f16 v39, v37, s1, v38 op_sel:[0,0,1] op_sel_hi:[1,1,0]
	v_pk_fma_f16 v38, v37, s1, v38 op_sel:[0,0,1] op_sel_hi:[1,1,0] neg_lo:[0,0,1] neg_hi:[0,0,1]
	v_lshrrev_b32_e32 v37, 16, v37
	v_mul_f16_e32 v34, -0.5, v34
	s_mov_b32 s4, 0xffff
	v_fma_f16 v34, v37, s0, v34
	v_bfi_b32 v37, s4, v39, v38
	v_pk_add_f16 v37, v33, v37
	v_add_f16_e32 v40, v35, v34
	v_add_f16_sdwa v41, v35, v36 dst_sel:DWORD dst_unused:UNUSED_PAD src0_sel:WORD_1 src1_sel:DWORD
	v_alignbit_b32 v40, v40, v37, 16
	v_pack_b32_f16 v37, v41, v37
	v_mad_u32_u24 v41, v5, 20, v23
	v_pk_add_f16 v18, v20, v18
	v_pk_add_f16 v20, v31, v27
	s_barrier
	ds_write2_b32 v41, v37, v40 offset0:1 offset1:2
	v_pack_b32_f16 v36, v36, v39
	v_alignbit_b32 v37, v33, v35, 16
	v_pk_add_f16 v18, v18, v25
	v_pk_add_f16 v20, v20, v29
	v_pk_add_f16 v36, v37, v36 neg_lo:[0,1] neg_hi:[0,1]
	v_pk_add_f16 v25, v18, v20 neg_lo:[0,1] neg_hi:[0,1]
	ds_write2_b32 v41, v25, v36 offset0:3 offset1:4
	v_pk_add_f16 v18, v18, v20
	v_alignbit_b32 v20, v35, v33, 16
	v_alignbit_b32 v25, v34, v38, 16
	v_pk_add_f16 v20, v20, v25 neg_lo:[0,1] neg_hi:[0,1]
	ds_write2_b32 v41, v18, v20 offset1:5
	v_pk_add_f16 v20, v26, v28
	v_pk_add_f16 v25, v26, v28 neg_lo:[0,1] neg_hi:[0,1]
	v_pk_fma_f16 v20, v20, 0.5, v30 op_sel_hi:[1,0,1] neg_lo:[1,0,0] neg_hi:[1,0,0]
	v_pk_fma_f16 v27, v25, s0, v20 op_sel:[0,0,1] op_sel_hi:[1,0,0] neg_lo:[1,0,0] neg_hi:[1,0,0]
	v_pk_fma_f16 v20, v25, s0, v20 op_sel:[0,0,1] op_sel_hi:[1,0,0]
	v_pk_add_f16 v25, v24, v32
	v_pk_add_f16 v18, v30, v26
	v_pk_add_f16 v26, v17, v24
	v_pk_fma_f16 v17, v25, 0.5, v17 op_sel_hi:[1,0,1] neg_lo:[1,0,0] neg_hi:[1,0,0]
	v_pk_add_f16 v24, v24, v32 neg_lo:[0,1] neg_hi:[0,1]
	v_pk_fma_f16 v25, v24, s0, v17 op_sel:[0,0,1] op_sel_hi:[1,0,0]
	v_pk_fma_f16 v17, v24, s0, v17 op_sel:[0,0,1] op_sel_hi:[1,0,0] neg_lo:[1,0,0] neg_hi:[1,0,0]
	v_pk_mul_f16 v29, v17, s0 op_sel_hi:[1,0]
	v_pk_add_f16 v18, v18, v28
	v_lshrrev_b32_e32 v24, 16, v17
	v_mul_f16_e32 v28, 0xbaee, v25
	v_pk_fma_f16 v30, v25, s1, v29 op_sel:[0,0,1] op_sel_hi:[1,1,0]
	v_pk_fma_f16 v29, v25, s1, v29 op_sel:[0,0,1] op_sel_hi:[1,1,0] neg_lo:[0,0,1] neg_hi:[0,0,1]
	v_lshrrev_b32_e32 v25, 16, v25
	v_mul_f16_e32 v17, -0.5, v17
	v_fma_f16 v24, v24, 0.5, v28
	v_bfi_b32 v31, s4, v30, v29
	v_fma_f16 v17, v25, s0, v17
	v_add_f16_sdwa v28, v27, v24 dst_sel:DWORD dst_unused:UNUSED_PAD src0_sel:WORD_1 src1_sel:DWORD
	v_pk_add_f16 v31, v20, v31
	v_add_f16_e32 v25, v27, v17
	v_alignbit_b32 v25, v25, v31, 16
	v_pack_b32_f16 v28, v28, v31
	v_mul_i32_i24_e32 v31, 6, v7
	v_pk_add_f16 v26, v26, v32
	v_lshl_add_u32 v37, v31, 2, v0
	ds_write2_b32 v37, v28, v25 offset0:1 offset1:2
	v_pk_add_f16 v25, v18, v26
	v_pk_add_f16 v18, v18, v26 neg_lo:[0,1] neg_hi:[0,1]
	v_alignbit_b32 v26, v20, v27, 16
	v_pack_b32_f16 v24, v24, v30
	v_pk_add_f16 v24, v26, v24 neg_lo:[0,1] neg_hi:[0,1]
	ds_write2_b32 v37, v18, v24 offset0:3 offset1:4
	v_alignbit_b32 v18, v27, v20, 16
	v_alignbit_b32 v17, v17, v29, 16
	v_pk_add_f16 v17, v18, v17 neg_lo:[0,1] neg_hi:[0,1]
	s_movk_i32 s1, 0xab
	ds_write2_b32 v37, v25, v17 offset1:5
	v_mul_lo_u16_sdwa v17, v5, s1 dst_sel:DWORD dst_unused:UNUSED_PAD src0_sel:BYTE_0 src1_sel:DWORD
	v_lshrrev_b16_e32 v20, 10, v17
	v_mul_lo_u16_e32 v17, 6, v20
	v_sub_u16_e32 v38, v5, v17
	v_mov_b32_e32 v17, 5
	v_mul_u32_u24_sdwa v18, v38, v17 dst_sel:DWORD dst_unused:UNUSED_PAD src0_sel:BYTE_0 src1_sel:DWORD
	v_lshlrev_b32_e32 v18, 2, v18
	s_waitcnt lgkmcnt(0)
	s_barrier
	global_load_dwordx4 v[29:32], v18, s[12:13]
	v_mul_lo_u16_sdwa v24, v7, s1 dst_sel:DWORD dst_unused:UNUSED_PAD src0_sel:BYTE_0 src1_sel:DWORD
	v_lshrrev_b16_e32 v39, 10, v24
	v_mul_lo_u16_e32 v24, 6, v39
	v_sub_u16_e32 v40, v7, v24
	v_mul_u32_u24_sdwa v17, v40, v17 dst_sel:DWORD dst_unused:UNUSED_PAD src0_sel:BYTE_0 src1_sel:DWORD
	v_lshlrev_b32_e32 v41, 2, v17
	global_load_dwordx4 v[33:36], v41, s[12:13]
	global_load_dword v42, v18, s[12:13] offset:16
	v_lshl_add_u32 v27, v15, 2, v0
	v_lshl_add_u32 v26, v13, 2, v0
	;; [unrolled: 1-line block ×3, first 2 shown]
	s_movk_i32 s1, 0xffec
	v_lshl_add_u32 v25, v11, 2, v0
	ds_read_b32 v17, v27
	ds_read_b32 v43, v25
	;; [unrolled: 1-line block ×3, first 2 shown]
	v_mad_i32_i24 v28, v7, s1, v37
	ds_read_b32 v37, v26
	ds_read_b32 v45, v28
	;; [unrolled: 1-line block ×3, first 2 shown]
	global_load_dword v41, v41, s[12:13] offset:16
	s_waitcnt lgkmcnt(5)
	v_lshrrev_b32_e32 v18, 16, v17
	s_mov_b32 s1, 0xbaee
	s_movk_i32 s5, 0x90
	v_mad_u32_u24 v20, v20, s5, 0
	v_mad_u32_u24 v39, v39, s5, 0
	v_lshlrev_b64 v[9:10], 2, v[9:10]
	v_lshlrev_b64 v[11:12], 2, v[11:12]
	;; [unrolled: 1-line block ×4, first 2 shown]
	s_waitcnt vmcnt(3)
	v_mul_f16_sdwa v47, v29, v18 dst_sel:DWORD dst_unused:UNUSED_PAD src0_sel:WORD_1 src1_sel:DWORD
	v_fma_f16 v47, v29, v17, v47
	v_mul_f16_sdwa v17, v29, v17 dst_sel:DWORD dst_unused:UNUSED_PAD src0_sel:WORD_1 src1_sel:DWORD
	v_fma_f16 v48, v29, v18, -v17
	s_waitcnt lgkmcnt(4)
	v_lshrrev_b32_e32 v29, 16, v43
	ds_read2_b32 v[17:18], v23 offset0:144 offset1:168
	v_mul_f16_sdwa v49, v30, v29 dst_sel:DWORD dst_unused:UNUSED_PAD src0_sel:WORD_1 src1_sel:DWORD
	v_fma_f16 v49, v30, v43, v49
	v_mul_f16_sdwa v43, v30, v43 dst_sel:DWORD dst_unused:UNUSED_PAD src0_sel:WORD_1 src1_sel:DWORD
	v_fma_f16 v43, v30, v29, -v43
	ds_read2_b32 v[29:30], v23 offset0:192 offset1:216
	s_waitcnt lgkmcnt(1)
	v_lshrrev_b32_e32 v50, 16, v17
	v_mul_f16_sdwa v51, v31, v17 dst_sel:DWORD dst_unused:UNUSED_PAD src0_sel:WORD_1 src1_sel:DWORD
	v_fma_f16 v51, v31, v50, -v51
	v_mul_f16_sdwa v50, v31, v50 dst_sel:DWORD dst_unused:UNUSED_PAD src0_sel:WORD_1 src1_sel:DWORD
	v_fma_f16 v31, v31, v17, v50
	s_waitcnt lgkmcnt(0)
	v_lshrrev_b32_e32 v17, 16, v29
	v_mul_f16_sdwa v50, v32, v29 dst_sel:DWORD dst_unused:UNUSED_PAD src0_sel:WORD_1 src1_sel:DWORD
	v_fma_f16 v50, v32, v17, -v50
	v_mul_f16_sdwa v17, v32, v17 dst_sel:DWORD dst_unused:UNUSED_PAD src0_sel:WORD_1 src1_sel:DWORD
	v_fma_f16 v32, v32, v29, v17
	v_lshrrev_b32_e32 v17, 16, v37
	s_waitcnt vmcnt(2)
	v_mul_f16_sdwa v29, v17, v33 dst_sel:DWORD dst_unused:UNUSED_PAD src0_sel:DWORD src1_sel:WORD_1
	v_fma_f16 v52, v37, v33, v29
	v_mul_f16_sdwa v29, v37, v33 dst_sel:DWORD dst_unused:UNUSED_PAD src0_sel:DWORD src1_sel:WORD_1
	v_fma_f16 v33, v17, v33, -v29
	v_lshrrev_b32_e32 v17, 16, v44
	v_mul_f16_sdwa v29, v17, v34 dst_sel:DWORD dst_unused:UNUSED_PAD src0_sel:DWORD src1_sel:WORD_1
	v_fma_f16 v37, v44, v34, v29
	v_mul_f16_sdwa v29, v44, v34 dst_sel:DWORD dst_unused:UNUSED_PAD src0_sel:DWORD src1_sel:WORD_1
	v_fma_f16 v34, v17, v34, -v29
	v_lshrrev_b32_e32 v17, 16, v18
	v_mul_f16_sdwa v29, v17, v35 dst_sel:DWORD dst_unused:UNUSED_PAD src0_sel:DWORD src1_sel:WORD_1
	v_fma_f16 v44, v18, v35, v29
	v_mul_f16_sdwa v18, v18, v35 dst_sel:DWORD dst_unused:UNUSED_PAD src0_sel:DWORD src1_sel:WORD_1
	v_add_u32_e32 v29, 0x200, v23
	v_fma_f16 v35, v17, v35, -v18
	ds_read2_b32 v[17:18], v29 offset0:112 offset1:136
	v_lshrrev_b32_e32 v53, 16, v30
	v_mul_f16_sdwa v54, v53, v36 dst_sel:DWORD dst_unused:UNUSED_PAD src0_sel:DWORD src1_sel:WORD_1
	v_fma_f16 v54, v30, v36, v54
	v_mul_f16_sdwa v30, v30, v36 dst_sel:DWORD dst_unused:UNUSED_PAD src0_sel:DWORD src1_sel:WORD_1
	v_fma_f16 v30, v53, v36, -v30
	s_waitcnt lgkmcnt(0)
	v_lshrrev_b32_e32 v36, 16, v17
	s_waitcnt vmcnt(1)
	v_mul_f16_sdwa v53, v17, v42 dst_sel:DWORD dst_unused:UNUSED_PAD src0_sel:DWORD src1_sel:WORD_1
	v_fma_f16 v53, v36, v42, -v53
	v_mul_f16_sdwa v36, v36, v42 dst_sel:DWORD dst_unused:UNUSED_PAD src0_sel:DWORD src1_sel:WORD_1
	v_fma_f16 v17, v17, v42, v36
	v_lshrrev_b32_e32 v36, 16, v46
	v_add_f16_e32 v42, v36, v43
	v_sub_f16_e32 v55, v43, v50
	v_add_f16_e32 v43, v43, v50
	v_fma_f16 v36, v43, -0.5, v36
	v_add_f16_e32 v43, v49, v32
	v_fma_f16 v43, v43, -0.5, v46
	v_add_f16_e32 v46, v46, v49
	v_add_f16_e32 v42, v42, v50
	;; [unrolled: 1-line block ×3, first 2 shown]
	v_sub_f16_e32 v32, v49, v32
	v_add_f16_e32 v49, v48, v51
	v_sub_f16_e32 v50, v51, v53
	v_add_f16_e32 v51, v51, v53
	v_fma_f16 v48, v51, -0.5, v48
	v_add_f16_e32 v51, v31, v17
	v_fma_f16 v51, v51, -0.5, v47
	v_add_f16_e32 v47, v47, v31
	v_add_f16_e32 v47, v47, v17
	v_sub_f16_e32 v17, v31, v17
	v_add_f16_e32 v49, v49, v53
	v_fma_f16 v53, v17, s0, v48
	v_fma_f16 v31, v50, s1, v51
	v_mul_f16_e32 v56, 0xbaee, v53
	v_mul_f16_e32 v53, 0.5, v53
	v_fma_f16 v56, v31, 0.5, v56
	v_fma_f16 v31, v31, s0, v53
	v_mov_b32_e32 v53, 2
	v_lshlrev_b32_sdwa v38, v53, v38 dst_sel:DWORD dst_unused:UNUSED_PAD src0_sel:DWORD src1_sel:BYTE_0
	v_add3_u32 v20, v20, v38, v19
	v_add_f16_e32 v38, v46, v47
	v_add_f16_e32 v57, v42, v49
	v_pack_b32_f16 v38, v38, v57
	v_fma_f16 v57, v55, s1, v43
	v_fma_f16 v58, v32, s0, v36
	v_add_f16_e32 v59, v57, v56
	v_add_f16_e32 v60, v58, v31
	v_pack_b32_f16 v59, v59, v60
	v_fma_f16 v17, v17, s1, v48
	s_waitcnt vmcnt(0)
	s_barrier
	ds_write2_b32 v20, v38, v59 offset1:6
	v_fma_f16 v38, v55, s0, v43
	v_fma_f16 v32, v32, s1, v36
	;; [unrolled: 1-line block ×3, first 2 shown]
	v_mul_f16_e32 v43, 0xbaee, v17
	v_mul_f16_e32 v17, -0.5, v17
	v_fma_f16 v43, v36, -0.5, v43
	v_fma_f16 v17, v36, s0, v17
	v_sub_f16_e32 v36, v46, v47
	v_sub_f16_e32 v42, v42, v49
	v_add_f16_e32 v46, v38, v43
	v_add_f16_e32 v47, v32, v17
	v_pack_b32_f16 v46, v46, v47
	v_pack_b32_f16 v36, v36, v42
	ds_write2_b32 v20, v46, v36 offset0:12 offset1:18
	v_sub_f16_e32 v36, v57, v56
	v_sub_f16_e32 v38, v38, v43
	;; [unrolled: 1-line block ×4, first 2 shown]
	v_pack_b32_f16 v31, v36, v31
	v_pack_b32_f16 v17, v38, v17
	ds_write2_b32 v20, v31, v17 offset0:24 offset1:30
	v_lshrrev_b32_e32 v17, 16, v18
	v_mul_f16_sdwa v20, v17, v41 dst_sel:DWORD dst_unused:UNUSED_PAD src0_sel:DWORD src1_sel:WORD_1
	v_fma_f16 v20, v18, v41, v20
	v_mul_f16_sdwa v18, v18, v41 dst_sel:DWORD dst_unused:UNUSED_PAD src0_sel:DWORD src1_sel:WORD_1
	v_fma_f16 v17, v17, v41, -v18
	v_lshrrev_b32_e32 v18, 16, v45
	v_add_f16_e32 v31, v18, v34
	v_add_f16_e32 v31, v31, v30
	v_sub_f16_e32 v32, v34, v30
	v_add_f16_e32 v30, v34, v30
	v_fma_f16 v18, v30, -0.5, v18
	v_add_f16_e32 v30, v37, v54
	v_add_f16_e32 v34, v45, v37
	v_sub_f16_e32 v36, v37, v54
	v_add_f16_e32 v37, v33, v35
	v_add_f16_e32 v37, v37, v17
	v_sub_f16_e32 v38, v35, v17
	v_add_f16_e32 v17, v35, v17
	v_add_f16_e32 v35, v52, v44
	v_fma_f16 v17, v17, -0.5, v33
	v_add_f16_e32 v33, v44, v20
	v_add_f16_e32 v35, v35, v20
	v_sub_f16_e32 v20, v44, v20
	v_fma_f16 v33, v33, -0.5, v52
	v_fma_f16 v42, v20, s0, v17
	v_add_f16_e32 v34, v34, v54
	v_fma_f16 v41, v38, s1, v33
	v_mul_f16_e32 v43, 0xbaee, v42
	v_mul_f16_e32 v42, 0.5, v42
	v_lshlrev_b32_sdwa v40, v53, v40 dst_sel:DWORD dst_unused:UNUSED_PAD src0_sel:DWORD src1_sel:BYTE_0
	v_fma_f16 v30, v30, -0.5, v45
	v_fma_f16 v43, v41, 0.5, v43
	v_fma_f16 v41, v41, s0, v42
	v_add3_u32 v39, v39, v40, v19
	v_add_f16_e32 v40, v34, v35
	v_add_f16_e32 v42, v31, v37
	v_fma_f16 v17, v20, s1, v17
	v_pack_b32_f16 v40, v40, v42
	v_fma_f16 v42, v32, s1, v30
	v_fma_f16 v30, v32, s0, v30
	;; [unrolled: 1-line block ×3, first 2 shown]
	v_mul_f16_e32 v20, 0xbaee, v17
	v_mul_f16_e32 v17, -0.5, v17
	v_fma_f16 v44, v36, s0, v18
	v_fma_f16 v18, v36, s1, v18
	v_fma_f16 v20, v32, -0.5, v20
	v_fma_f16 v17, v32, s0, v17
	v_sub_f16_e32 v32, v34, v35
	v_sub_f16_e32 v31, v31, v37
	v_add_f16_e32 v33, v30, v20
	v_add_f16_e32 v34, v18, v17
	v_pack_b32_f16 v33, v33, v34
	v_pack_b32_f16 v31, v32, v31
	ds_write2_b32 v39, v33, v31 offset0:12 offset1:18
	v_sub_f16_e32 v31, v42, v43
	v_sub_f16_e32 v20, v30, v20
	;; [unrolled: 1-line block ×4, first 2 shown]
	v_pack_b32_f16 v18, v31, v30
	v_pack_b32_f16 v17, v20, v17
	v_add_f16_e32 v45, v42, v43
	v_add_f16_e32 v46, v44, v41
	ds_write2_b32 v39, v18, v17 offset0:24 offset1:30
	v_mul_u32_u24_e32 v17, 3, v5
	v_pack_b32_f16 v45, v45, v46
	v_lshlrev_b32_e32 v20, 2, v17
	ds_write2_b32 v39, v40, v45 offset1:6
	s_waitcnt lgkmcnt(0)
	s_barrier
	global_load_dwordx3 v[30:32], v20, s[12:13] offset:120
	v_add_u32_e32 v17, -12, v5
	v_cmp_gt_u32_e64 s[0:1], 12, v5
	v_cndmask_b32_e64 v41, v17, v7, s[0:1]
	v_mul_i32_i24_e32 v17, 3, v41
	v_mov_b32_e32 v18, 0
	v_lshlrev_b64 v[17:18], 2, v[17:18]
	v_mov_b32_e32 v42, s13
	v_add_co_u32_e64 v17, s[0:1], s12, v17
	v_addc_co_u32_e64 v18, s[0:1], v42, v18, s[0:1]
	global_load_dwordx3 v[33:35], v[17:18], off offset:120
	global_load_dwordx3 v[36:38], v20, s[12:13] offset:264
	ds_read_b32 v20, v26
	ds_read_b32 v43, v24
	;; [unrolled: 1-line block ×3, first 2 shown]
	ds_read2_b32 v[17:18], v23 offset0:144 offset1:168
	v_cmp_lt_u32_e64 s[0:1], 11, v5
	s_waitcnt lgkmcnt(3)
	v_lshrrev_b32_e32 v39, 16, v20
	s_waitcnt lgkmcnt(0)
	v_lshrrev_b32_e32 v50, 16, v18
	s_waitcnt vmcnt(2)
	v_mul_f16_sdwa v40, v30, v39 dst_sel:DWORD dst_unused:UNUSED_PAD src0_sel:WORD_1 src1_sel:DWORD
	v_fma_f16 v45, v30, v20, v40
	v_mul_f16_sdwa v20, v30, v20 dst_sel:DWORD dst_unused:UNUSED_PAD src0_sel:WORD_1 src1_sel:DWORD
	v_fma_f16 v20, v30, v39, -v20
	ds_read2_b32 v[39:40], v23 offset0:192 offset1:216
	v_lshrrev_b32_e32 v30, 16, v17
	v_mul_f16_sdwa v46, v31, v17 dst_sel:DWORD dst_unused:UNUSED_PAD src0_sel:WORD_1 src1_sel:DWORD
	v_fma_f16 v46, v31, v30, -v46
	v_mul_f16_sdwa v30, v31, v30 dst_sel:DWORD dst_unused:UNUSED_PAD src0_sel:WORD_1 src1_sel:DWORD
	v_fma_f16 v17, v31, v17, v30
	s_waitcnt lgkmcnt(0)
	v_lshrrev_b32_e32 v30, 16, v40
	v_mul_f16_sdwa v31, v32, v40 dst_sel:DWORD dst_unused:UNUSED_PAD src0_sel:WORD_1 src1_sel:DWORD
	v_fma_f16 v47, v32, v30, -v31
	ds_read_b32 v31, v25
	v_mul_f16_sdwa v30, v32, v30 dst_sel:DWORD dst_unused:UNUSED_PAD src0_sel:WORD_1 src1_sel:DWORD
	v_fma_f16 v32, v32, v40, v30
	ds_read_b32 v40, v21
	ds_read_b32 v48, v27
	s_waitcnt vmcnt(1)
	v_mul_f16_sdwa v51, v34, v50 dst_sel:DWORD dst_unused:UNUSED_PAD src0_sel:WORD_1 src1_sel:DWORD
	s_waitcnt lgkmcnt(2)
	v_lshrrev_b32_e32 v30, 16, v31
	v_mul_f16_sdwa v49, v33, v30 dst_sel:DWORD dst_unused:UNUSED_PAD src0_sel:WORD_1 src1_sel:DWORD
	v_fma_f16 v49, v33, v31, v49
	v_mul_f16_sdwa v31, v33, v31 dst_sel:DWORD dst_unused:UNUSED_PAD src0_sel:WORD_1 src1_sel:DWORD
	v_fma_f16 v33, v33, v30, -v31
	ds_read2_b32 v[30:31], v29 offset0:112 offset1:136
	v_fma_f16 v51, v34, v18, v51
	v_mul_f16_sdwa v18, v34, v18 dst_sel:DWORD dst_unused:UNUSED_PAD src0_sel:WORD_1 src1_sel:DWORD
	v_fma_f16 v18, v34, v50, -v18
	s_waitcnt lgkmcnt(2)
	v_sub_f16_e32 v17, v40, v17
	s_waitcnt lgkmcnt(0)
	v_lshrrev_b32_e32 v34, 16, v30
	v_mul_f16_sdwa v50, v30, v35 dst_sel:DWORD dst_unused:UNUSED_PAD src0_sel:DWORD src1_sel:WORD_1
	v_fma_f16 v50, v34, v35, -v50
	v_mul_f16_sdwa v34, v34, v35 dst_sel:DWORD dst_unused:UNUSED_PAD src0_sel:DWORD src1_sel:WORD_1
	v_fma_f16 v30, v30, v35, v34
	v_lshrrev_b32_e32 v34, 16, v43
	s_waitcnt vmcnt(0)
	v_mul_f16_sdwa v35, v34, v36 dst_sel:DWORD dst_unused:UNUSED_PAD src0_sel:DWORD src1_sel:WORD_1
	v_fma_f16 v35, v43, v36, v35
	v_mul_f16_sdwa v43, v43, v36 dst_sel:DWORD dst_unused:UNUSED_PAD src0_sel:DWORD src1_sel:WORD_1
	v_fma_f16 v34, v34, v36, -v43
	v_lshrrev_b32_e32 v36, 16, v39
	v_mul_f16_sdwa v43, v36, v37 dst_sel:DWORD dst_unused:UNUSED_PAD src0_sel:DWORD src1_sel:WORD_1
	v_fma_f16 v43, v39, v37, v43
	v_mul_f16_sdwa v39, v39, v37 dst_sel:DWORD dst_unused:UNUSED_PAD src0_sel:DWORD src1_sel:WORD_1
	v_fma_f16 v36, v36, v37, -v39
	v_lshrrev_b32_e32 v37, 16, v31
	;; [unrolled: 5-line block ×3, first 2 shown]
	v_sub_f16_e32 v38, v37, v46
	v_sub_f16_e32 v32, v45, v32
	;; [unrolled: 1-line block ×3, first 2 shown]
	v_fma_f16 v40, v40, 2.0, -v17
	v_fma_f16 v37, v37, 2.0, -v38
	v_fma_f16 v45, v45, 2.0, -v32
	v_fma_f16 v20, v20, 2.0, -v46
	v_sub_f16_e32 v45, v40, v45
	v_sub_f16_e32 v20, v37, v20
	v_fma_f16 v40, v40, 2.0, -v45
	v_fma_f16 v37, v37, 2.0, -v20
	v_pack_b32_f16 v37, v40, v37
	v_add_f16_e32 v40, v17, v46
	v_sub_f16_e32 v32, v38, v32
	v_fma_f16 v17, v17, 2.0, -v40
	v_fma_f16 v38, v38, 2.0, -v32
	v_pack_b32_f16 v17, v17, v38
	s_barrier
	ds_write2_b32 v23, v37, v17 offset1:36
	v_pack_b32_f16 v17, v45, v20
	v_pack_b32_f16 v20, v40, v32
	ds_write2_b32 v23, v17, v20 offset0:72 offset1:108
	v_mov_b32_e32 v17, 0x240
	v_cndmask_b32_e64 v17, 0, v17, s[0:1]
	v_add_u32_e32 v17, 0, v17
	v_lshlrev_b32_e32 v20, 2, v41
	v_add3_u32 v17, v17, v20, v19
	v_lshrrev_b32_e32 v20, 16, v44
	v_sub_f16_e32 v19, v44, v51
	v_sub_f16_e32 v18, v20, v18
	;; [unrolled: 1-line block ×4, first 2 shown]
	v_fma_f16 v32, v44, 2.0, -v19
	v_fma_f16 v20, v20, 2.0, -v18
	;; [unrolled: 1-line block ×4, first 2 shown]
	v_sub_f16_e32 v38, v32, v38
	v_sub_f16_e32 v33, v20, v33
	v_fma_f16 v32, v32, 2.0, -v38
	v_fma_f16 v20, v20, 2.0, -v33
	v_pack_b32_f16 v20, v32, v20
	v_add_f16_e32 v32, v19, v37
	v_sub_f16_e32 v30, v18, v30
	v_fma_f16 v19, v19, 2.0, -v32
	v_fma_f16 v18, v18, 2.0, -v30
	v_pack_b32_f16 v18, v19, v18
	ds_write2_b32 v17, v20, v18 offset1:36
	v_pack_b32_f16 v18, v38, v33
	v_pack_b32_f16 v19, v32, v30
	ds_write2_b32 v17, v18, v19 offset0:72 offset1:108
	v_lshrrev_b32_e32 v18, 16, v48
	v_sub_f16_e32 v17, v48, v43
	v_sub_f16_e32 v19, v18, v36
	;; [unrolled: 1-line block ×4, first 2 shown]
	v_fma_f16 v20, v48, 2.0, -v17
	v_fma_f16 v18, v18, 2.0, -v19
	;; [unrolled: 1-line block ×4, first 2 shown]
	v_sub_f16_e32 v32, v20, v32
	v_sub_f16_e32 v33, v18, v33
	v_fma_f16 v20, v20, 2.0, -v32
	v_fma_f16 v18, v18, 2.0, -v33
	v_add_co_u32_e64 v9, s[0:1], s12, v9
	v_pack_b32_f16 v18, v20, v18
	v_add_f16_e32 v20, v17, v31
	v_sub_f16_e32 v30, v19, v30
	v_addc_co_u32_e64 v10, s[0:1], v42, v10, s[0:1]
	v_fma_f16 v17, v17, 2.0, -v20
	v_fma_f16 v19, v19, 2.0, -v30
	v_pack_b32_f16 v17, v17, v19
	v_add_co_u32_e64 v11, s[0:1], s12, v11
	ds_write2_b32 v23, v18, v17 offset0:156 offset1:192
	v_pack_b32_f16 v17, v32, v33
	v_pack_b32_f16 v18, v20, v30
	v_addc_co_u32_e64 v12, s[0:1], v42, v12, s[0:1]
	ds_write2_b32 v29, v17, v18 offset0:100 offset1:136
	s_waitcnt lgkmcnt(0)
	s_barrier
	global_load_dword v33, v[9:10], off offset:552
	v_add_co_u32_e64 v13, s[0:1], s12, v13
	v_addc_co_u32_e64 v14, s[0:1], v42, v14, s[0:1]
	v_add_co_u32_e64 v15, s[0:1], s12, v15
	v_addc_co_u32_e64 v16, s[0:1], v42, v16, s[0:1]
	global_load_dword v34, v[11:12], off offset:552
	global_load_dword v35, v[13:14], off offset:552
	;; [unrolled: 1-line block ×3, first 2 shown]
	v_lshlrev_b64 v[17:18], 2, v[5:6]
	ds_read2_b32 v[29:30], v29 offset0:112 offset1:136
	v_add_co_u32_e64 v19, s[0:1], s12, v17
	v_addc_co_u32_e64 v20, s[0:1], v42, v18, s[0:1]
	global_load_dword v6, v[19:20], off offset:552
	v_lshlrev_b64 v[17:18], 2, v[7:8]
	ds_read2_b32 v[31:32], v23 offset0:192 offset1:216
	v_add_co_u32_e64 v17, s[0:1], s12, v17
	v_addc_co_u32_e64 v18, s[0:1], v42, v18, s[0:1]
	global_load_dword v8, v[17:18], off offset:552
	v_cmp_ne_u32_e64 s[0:1], 0, v5
	s_waitcnt vmcnt(5) lgkmcnt(1)
	v_pk_mul_f16 v37, v30, v33 op_sel:[0,1]
	v_pk_fma_f16 v38, v30, v33, v37 op_sel:[0,0,1] op_sel_hi:[1,1,0]
	v_pk_fma_f16 v33, v30, v33, v37 op_sel:[0,0,1] op_sel_hi:[1,0,0] neg_lo:[0,0,1] neg_hi:[0,0,1]
	s_waitcnt vmcnt(4)
	v_pk_mul_f16 v30, v34, v29 op_sel:[0,1]
	v_pk_fma_f16 v37, v34, v29, v30 op_sel:[0,0,1] op_sel_hi:[1,1,0]
	v_pk_fma_f16 v34, v34, v29, v30 op_sel:[0,0,1] op_sel_hi:[1,0,0] neg_lo:[1,0,0] neg_hi:[1,0,0]
	ds_read2_b32 v[29:30], v23 offset0:144 offset1:168
	s_waitcnt vmcnt(3) lgkmcnt(1)
	v_pk_mul_f16 v39, v35, v32 op_sel:[0,1]
	v_pk_fma_f16 v40, v35, v32, v39 op_sel:[0,0,1] op_sel_hi:[1,1,0]
	v_pk_fma_f16 v32, v35, v32, v39 op_sel:[0,0,1] op_sel_hi:[1,0,0] neg_lo:[1,0,0] neg_hi:[1,0,0]
	s_waitcnt vmcnt(2)
	v_pk_mul_f16 v35, v36, v31 op_sel:[0,1]
	v_pk_fma_f16 v39, v36, v31, v35 op_sel:[0,0,1] op_sel_hi:[1,1,0]
	v_pk_fma_f16 v31, v36, v31, v35 op_sel:[0,0,1] op_sel_hi:[1,0,0] neg_lo:[1,0,0] neg_hi:[1,0,0]
	s_waitcnt vmcnt(1) lgkmcnt(0)
	v_pk_mul_f16 v35, v6, v29 op_sel:[0,1]
	v_pk_fma_f16 v36, v6, v29, v35 op_sel:[0,0,1] op_sel_hi:[1,1,0]
	v_pk_fma_f16 v6, v6, v29, v35 op_sel:[0,0,1] op_sel_hi:[1,0,0] neg_lo:[1,0,0] neg_hi:[1,0,0]
	ds_read_b32 v29, v21
	v_bfi_b32 v6, s4, v36, v6
	s_waitcnt vmcnt(0)
	v_pk_mul_f16 v35, v8, v30 op_sel:[0,1]
	v_pk_fma_f16 v41, v8, v30, v35 op_sel:[0,0,1] op_sel_hi:[1,1,0]
	v_pk_fma_f16 v8, v8, v30, v35 op_sel:[0,0,1] op_sel_hi:[1,0,0] neg_lo:[1,0,0] neg_hi:[1,0,0]
	ds_read_b32 v30, v27
	ds_read_b32 v35, v24
	;; [unrolled: 1-line block ×5, first 2 shown]
	s_waitcnt lgkmcnt(5)
	v_pk_add_f16 v6, v29, v6 neg_lo:[0,1] neg_hi:[0,1]
	v_pk_fma_f16 v29, v29, 2.0, v6 op_sel_hi:[1,0,1] neg_lo:[0,0,1] neg_hi:[0,0,1]
	s_waitcnt lgkmcnt(0)
	s_barrier
	ds_write2_b32 v23, v29, v6 offset1:144
	v_bfi_b32 v6, s4, v41, v8
	v_pk_add_f16 v6, v42, v6 neg_lo:[0,1] neg_hi:[0,1]
	v_pk_fma_f16 v8, v42, 2.0, v6 op_sel_hi:[1,0,1] neg_lo:[0,0,1] neg_hi:[0,0,1]
	ds_write2_b32 v28, v8, v6 offset1:144
	v_bfi_b32 v6, s4, v39, v31
	v_pk_add_f16 v6, v30, v6 neg_lo:[0,1] neg_hi:[0,1]
	v_pk_fma_f16 v8, v30, 2.0, v6 op_sel_hi:[1,0,1] neg_lo:[0,0,1] neg_hi:[0,0,1]
	;; [unrolled: 4-line block ×3, first 2 shown]
	v_bfi_b32 v23, s4, v37, v34
	ds_write2_b32 v26, v8, v6 offset1:144
	v_bfi_b32 v6, s4, v38, v33
	v_pk_add_f16 v23, v43, v23 neg_lo:[0,1] neg_hi:[0,1]
	v_pk_add_f16 v6, v35, v6 neg_lo:[0,1] neg_hi:[0,1]
	v_pk_fma_f16 v28, v43, 2.0, v23 op_sel_hi:[1,0,1] neg_lo:[0,0,1] neg_hi:[0,0,1]
	v_pk_fma_f16 v8, v35, 2.0, v6 op_sel_hi:[1,0,1] neg_lo:[0,0,1] neg_hi:[0,0,1]
	ds_write2_b32 v25, v28, v23 offset1:144
	ds_write2_b32 v24, v8, v6 offset1:144
	s_waitcnt lgkmcnt(0)
	s_barrier
	ds_read_b32 v28, v21
	v_sub_u32_e32 v6, v0, v22
                                        ; implicit-def: $vgpr22
                                        ; implicit-def: $vgpr8
                                        ; implicit-def: $vgpr23
	s_and_saveexec_b64 s[6:7], s[0:1]
	s_xor_b64 s[0:1], exec, s[6:7]
	s_cbranch_execz .LBB0_14
; %bb.13:
	global_load_dword v8, v[19:20], off offset:1128
	ds_read_b32 v19, v6 offset:1152
	s_waitcnt lgkmcnt(0)
	v_pk_add_f16 v20, v28, v19 neg_lo:[0,1] neg_hi:[0,1]
	v_pk_add_f16 v19, v19, v28
	v_bfi_b32 v22, s4, v20, v19
	v_bfi_b32 v19, s4, v19, v20
	v_pk_mul_f16 v20, v22, 0.5 op_sel_hi:[1,0]
	v_pk_mul_f16 v22, v19, 0.5 op_sel_hi:[1,0]
	s_waitcnt vmcnt(0)
	v_pk_mul_f16 v23, v8, v20 op_sel:[1,0]
	v_pk_mul_f16 v20, v8, v20 op_sel_hi:[0,1]
	v_pk_fma_f16 v8, v19, 0.5, v23 op_sel_hi:[1,0,1]
	v_sub_f16_e32 v19, v22, v23
	v_sub_f16_sdwa v23, v23, v22 dst_sel:DWORD dst_unused:UNUSED_PAD src0_sel:WORD_1 src1_sel:WORD_1
	v_pk_add_f16 v22, v8, v20 op_sel:[0,1] op_sel_hi:[1,0]
	v_pk_add_f16 v28, v8, v20 op_sel:[0,1] op_sel_hi:[1,0] neg_lo:[0,1] neg_hi:[0,1]
	v_sub_f16_sdwa v8, v19, v20 dst_sel:DWORD dst_unused:UNUSED_PAD src0_sel:DWORD src1_sel:WORD_1
	v_bfi_b32 v22, s4, v22, v28
	v_sub_f16_e32 v23, v23, v20
                                        ; implicit-def: $vgpr28
.LBB0_14:
	s_andn2_saveexec_b64 s[0:1], s[0:1]
	s_cbranch_execz .LBB0_16
; %bb.15:
	ds_read_u16 v19, v0 offset:578
	s_waitcnt lgkmcnt(1)
	v_alignbit_b32 v20, s0, v28, 16
	v_pk_add_f16 v20, v20, v28
	v_sub_f16_sdwa v8, v28, v28 dst_sel:DWORD dst_unused:UNUSED_PAD src0_sel:DWORD src1_sel:WORD_1
	v_pack_b32_f16 v22, v20, 0
	s_waitcnt lgkmcnt(0)
	v_xor_b32_e32 v19, 0x8000, v19
	v_mov_b32_e32 v23, 0
	ds_write_b16 v0, v19 offset:578
.LBB0_16:
	s_or_b64 exec, exec, s[0:1]
	global_load_dword v19, v[17:18], off offset:1128
	global_load_dword v20, v[15:16], off offset:1128
	s_waitcnt lgkmcnt(0)
	global_load_dword v28, v[13:14], off offset:1128
	ds_write_b16 v6, v23 offset:1154
	ds_write_b32 v21, v22
	ds_write_b16 v6, v8 offset:1152
	v_lshl_add_u32 v7, v7, 2, v0
	ds_read_b32 v8, v7
	ds_read_b32 v13, v6 offset:1056
	global_load_dword v14, v[11:12], off offset:1128
	global_load_dword v15, v[9:10], off offset:1128
	s_mov_b32 s0, 0xffff
	s_waitcnt lgkmcnt(0)
	v_pk_add_f16 v9, v8, v13 neg_lo:[0,1] neg_hi:[0,1]
	v_pk_add_f16 v8, v8, v13
	v_bfi_b32 v10, s0, v9, v8
	v_bfi_b32 v8, s0, v8, v9
	v_pk_mul_f16 v9, v10, 0.5 op_sel_hi:[1,0]
	v_pk_mul_f16 v8, v8, 0.5 op_sel_hi:[1,0]
	s_waitcnt vmcnt(4)
	v_pk_fma_f16 v10, v19, v9, v8 op_sel:[1,0,0]
	v_pk_mul_f16 v11, v19, v9 op_sel_hi:[0,1]
	v_pk_fma_f16 v12, v19, v9, v8 op_sel:[1,0,0] neg_lo:[1,0,0] neg_hi:[1,0,0]
	v_pk_fma_f16 v8, v19, v9, v8 op_sel:[1,0,0] neg_lo:[0,0,1] neg_hi:[0,0,1]
	v_pk_add_f16 v9, v10, v11 op_sel:[0,1] op_sel_hi:[1,0]
	v_pk_add_f16 v10, v10, v11 op_sel:[0,1] op_sel_hi:[1,0] neg_lo:[0,1] neg_hi:[0,1]
	v_pk_add_f16 v12, v12, v11 op_sel:[0,1] op_sel_hi:[1,0] neg_lo:[0,1] neg_hi:[0,1]
	v_pk_add_f16 v8, v8, v11 op_sel:[0,1] op_sel_hi:[1,0] neg_lo:[0,1] neg_hi:[0,1]
	v_bfi_b32 v9, s0, v9, v10
	v_bfi_b32 v8, s0, v12, v8
	ds_write_b32 v7, v9
	ds_write_b32 v6, v8 offset:1056
	ds_read_b32 v7, v27
	ds_read_b32 v8, v6 offset:960
	s_waitcnt lgkmcnt(0)
	v_pk_add_f16 v9, v7, v8 neg_lo:[0,1] neg_hi:[0,1]
	v_pk_add_f16 v7, v7, v8
	v_bfi_b32 v8, s0, v9, v7
	v_bfi_b32 v7, s0, v7, v9
	v_pk_mul_f16 v8, v8, 0.5 op_sel_hi:[1,0]
	v_pk_mul_f16 v7, v7, 0.5 op_sel_hi:[1,0]
	s_waitcnt vmcnt(3)
	v_pk_fma_f16 v9, v20, v8, v7 op_sel:[1,0,0]
	v_pk_mul_f16 v10, v20, v8 op_sel_hi:[0,1]
	v_pk_fma_f16 v11, v20, v8, v7 op_sel:[1,0,0] neg_lo:[1,0,0] neg_hi:[1,0,0]
	v_pk_fma_f16 v7, v20, v8, v7 op_sel:[1,0,0] neg_lo:[0,0,1] neg_hi:[0,0,1]
	v_pk_add_f16 v8, v9, v10 op_sel:[0,1] op_sel_hi:[1,0]
	v_pk_add_f16 v9, v9, v10 op_sel:[0,1] op_sel_hi:[1,0] neg_lo:[0,1] neg_hi:[0,1]
	v_pk_add_f16 v11, v11, v10 op_sel:[0,1] op_sel_hi:[1,0] neg_lo:[0,1] neg_hi:[0,1]
	v_pk_add_f16 v7, v7, v10 op_sel:[0,1] op_sel_hi:[1,0] neg_lo:[0,1] neg_hi:[0,1]
	v_bfi_b32 v8, s0, v8, v9
	v_bfi_b32 v7, s0, v11, v7
	ds_write_b32 v27, v8
	ds_write_b32 v6, v7 offset:960
	ds_read_b32 v7, v26
	ds_read_b32 v8, v6 offset:864
	;; [unrolled: 22-line block ×4, first 2 shown]
	s_waitcnt lgkmcnt(0)
	v_pk_add_f16 v9, v7, v8 neg_lo:[0,1] neg_hi:[0,1]
	v_pk_add_f16 v7, v7, v8
	v_bfi_b32 v8, s0, v9, v7
	v_bfi_b32 v7, s0, v7, v9
	v_pk_mul_f16 v8, v8, 0.5 op_sel_hi:[1,0]
	v_pk_mul_f16 v7, v7, 0.5 op_sel_hi:[1,0]
	s_waitcnt vmcnt(0)
	v_pk_fma_f16 v9, v15, v8, v7 op_sel:[1,0,0]
	v_pk_mul_f16 v10, v15, v8 op_sel_hi:[0,1]
	v_pk_fma_f16 v11, v15, v8, v7 op_sel:[1,0,0] neg_lo:[1,0,0] neg_hi:[1,0,0]
	v_pk_fma_f16 v7, v15, v8, v7 op_sel:[1,0,0] neg_lo:[0,0,1] neg_hi:[0,0,1]
	v_pk_add_f16 v8, v9, v10 op_sel:[0,1] op_sel_hi:[1,0]
	v_pk_add_f16 v9, v9, v10 op_sel:[0,1] op_sel_hi:[1,0] neg_lo:[0,1] neg_hi:[0,1]
	v_pk_add_f16 v11, v11, v10 op_sel:[0,1] op_sel_hi:[1,0] neg_lo:[0,1] neg_hi:[0,1]
	;; [unrolled: 1-line block ×3, first 2 shown]
	v_bfi_b32 v8, s0, v8, v9
	v_bfi_b32 v7, s0, v11, v7
	ds_write_b32 v24, v8
	ds_write_b32 v6, v7 offset:672
	s_waitcnt lgkmcnt(0)
	s_barrier
	s_and_saveexec_b64 s[0:1], vcc
	s_cbranch_execz .LBB0_19
; %bb.17:
	v_mul_lo_u32 v6, s3, v3
	v_mul_lo_u32 v4, s2, v4
	v_mad_u64_u32 v[7:8], s[0:1], s2, v3, 0
	v_lshl_add_u32 v3, v5, 2, v0
	v_mov_b32_e32 v0, s11
	v_add3_u32 v8, v8, v4, v6
	v_lshlrev_b64 v[7:8], 2, v[7:8]
	v_mov_b32_e32 v6, 0
	v_add_co_u32_e32 v4, vcc, s10, v7
	v_addc_co_u32_e32 v7, vcc, v0, v8, vcc
	v_lshlrev_b64 v[0:1], 2, v[1:2]
	ds_read2_b32 v[9:10], v3 offset1:24
	v_add_co_u32_e32 v0, vcc, v4, v0
	v_addc_co_u32_e32 v1, vcc, v7, v1, vcc
	v_lshlrev_b64 v[7:8], 2, v[5:6]
	v_add_u32_e32 v2, 0x200, v3
	v_add_co_u32_e32 v7, vcc, v0, v7
	v_addc_co_u32_e32 v8, vcc, v1, v8, vcc
	s_waitcnt lgkmcnt(0)
	global_store_dword v[7:8], v9, off
	v_add_u32_e32 v7, 24, v5
	v_mov_b32_e32 v8, v6
	v_lshlrev_b64 v[7:8], 2, v[7:8]
	v_add_co_u32_e32 v7, vcc, v0, v7
	v_addc_co_u32_e32 v8, vcc, v1, v8, vcc
	global_store_dword v[7:8], v10, off
	v_add_u32_e32 v7, 48, v5
	v_mov_b32_e32 v8, v6
	ds_read2_b32 v[9:10], v3 offset0:48 offset1:72
	v_lshlrev_b64 v[7:8], 2, v[7:8]
	v_add_co_u32_e32 v7, vcc, v0, v7
	v_addc_co_u32_e32 v8, vcc, v1, v8, vcc
	s_waitcnt lgkmcnt(0)
	global_store_dword v[7:8], v9, off
	v_add_u32_e32 v7, 0x48, v5
	v_mov_b32_e32 v8, v6
	v_lshlrev_b64 v[7:8], 2, v[7:8]
	v_add_co_u32_e32 v7, vcc, v0, v7
	v_addc_co_u32_e32 v8, vcc, v1, v8, vcc
	global_store_dword v[7:8], v10, off
	v_add_u32_e32 v7, 0x60, v5
	v_mov_b32_e32 v8, v6
	ds_read2_b32 v[9:10], v3 offset0:96 offset1:120
	v_lshlrev_b64 v[7:8], 2, v[7:8]
	;; [unrolled: 14-line block ×5, first 2 shown]
	v_add_co_u32_e32 v7, vcc, v0, v7
	v_addc_co_u32_e32 v8, vcc, v1, v8, vcc
	s_waitcnt lgkmcnt(0)
	global_store_dword v[7:8], v9, off
	v_add_u32_e32 v7, 0x108, v5
	v_mov_b32_e32 v8, v6
	v_lshlrev_b64 v[6:7], 2, v[7:8]
	v_add_co_u32_e32 v6, vcc, v0, v6
	v_addc_co_u32_e32 v7, vcc, v1, v7, vcc
	v_cmp_eq_u32_e32 vcc, 23, v5
	global_store_dword v[6:7], v10, off
	s_and_b64 exec, exec, vcc
	s_cbranch_execz .LBB0_19
; %bb.18:
	ds_read_b32 v2, v3 offset:1060
	s_waitcnt lgkmcnt(0)
	global_store_dword v[0:1], v2, off offset:1152
.LBB0_19:
	s_endpgm
	.section	.rodata,"a",@progbits
	.p2align	6, 0x0
	.amdhsa_kernel fft_rtc_back_len288_factors_6_6_4_2_wgs_120_tpt_24_halfLds_half_op_CI_CI_unitstride_sbrr_R2C_dirReg
		.amdhsa_group_segment_fixed_size 0
		.amdhsa_private_segment_fixed_size 0
		.amdhsa_kernarg_size 104
		.amdhsa_user_sgpr_count 6
		.amdhsa_user_sgpr_private_segment_buffer 1
		.amdhsa_user_sgpr_dispatch_ptr 0
		.amdhsa_user_sgpr_queue_ptr 0
		.amdhsa_user_sgpr_kernarg_segment_ptr 1
		.amdhsa_user_sgpr_dispatch_id 0
		.amdhsa_user_sgpr_flat_scratch_init 0
		.amdhsa_user_sgpr_private_segment_size 0
		.amdhsa_uses_dynamic_stack 0
		.amdhsa_system_sgpr_private_segment_wavefront_offset 0
		.amdhsa_system_sgpr_workgroup_id_x 1
		.amdhsa_system_sgpr_workgroup_id_y 0
		.amdhsa_system_sgpr_workgroup_id_z 0
		.amdhsa_system_sgpr_workgroup_info 0
		.amdhsa_system_vgpr_workitem_id 0
		.amdhsa_next_free_vgpr 61
		.amdhsa_next_free_sgpr 28
		.amdhsa_reserve_vcc 1
		.amdhsa_reserve_flat_scratch 0
		.amdhsa_float_round_mode_32 0
		.amdhsa_float_round_mode_16_64 0
		.amdhsa_float_denorm_mode_32 3
		.amdhsa_float_denorm_mode_16_64 3
		.amdhsa_dx10_clamp 1
		.amdhsa_ieee_mode 1
		.amdhsa_fp16_overflow 0
		.amdhsa_exception_fp_ieee_invalid_op 0
		.amdhsa_exception_fp_denorm_src 0
		.amdhsa_exception_fp_ieee_div_zero 0
		.amdhsa_exception_fp_ieee_overflow 0
		.amdhsa_exception_fp_ieee_underflow 0
		.amdhsa_exception_fp_ieee_inexact 0
		.amdhsa_exception_int_div_zero 0
	.end_amdhsa_kernel
	.text
.Lfunc_end0:
	.size	fft_rtc_back_len288_factors_6_6_4_2_wgs_120_tpt_24_halfLds_half_op_CI_CI_unitstride_sbrr_R2C_dirReg, .Lfunc_end0-fft_rtc_back_len288_factors_6_6_4_2_wgs_120_tpt_24_halfLds_half_op_CI_CI_unitstride_sbrr_R2C_dirReg
                                        ; -- End function
	.section	.AMDGPU.csdata,"",@progbits
; Kernel info:
; codeLenInByte = 7284
; NumSgprs: 32
; NumVgprs: 61
; ScratchSize: 0
; MemoryBound: 0
; FloatMode: 240
; IeeeMode: 1
; LDSByteSize: 0 bytes/workgroup (compile time only)
; SGPRBlocks: 3
; VGPRBlocks: 15
; NumSGPRsForWavesPerEU: 32
; NumVGPRsForWavesPerEU: 61
; Occupancy: 4
; WaveLimiterHint : 1
; COMPUTE_PGM_RSRC2:SCRATCH_EN: 0
; COMPUTE_PGM_RSRC2:USER_SGPR: 6
; COMPUTE_PGM_RSRC2:TRAP_HANDLER: 0
; COMPUTE_PGM_RSRC2:TGID_X_EN: 1
; COMPUTE_PGM_RSRC2:TGID_Y_EN: 0
; COMPUTE_PGM_RSRC2:TGID_Z_EN: 0
; COMPUTE_PGM_RSRC2:TIDIG_COMP_CNT: 0
	.type	__hip_cuid_dc5ec628ac57d774,@object ; @__hip_cuid_dc5ec628ac57d774
	.section	.bss,"aw",@nobits
	.globl	__hip_cuid_dc5ec628ac57d774
__hip_cuid_dc5ec628ac57d774:
	.byte	0                               ; 0x0
	.size	__hip_cuid_dc5ec628ac57d774, 1

	.ident	"AMD clang version 19.0.0git (https://github.com/RadeonOpenCompute/llvm-project roc-6.4.0 25133 c7fe45cf4b819c5991fe208aaa96edf142730f1d)"
	.section	".note.GNU-stack","",@progbits
	.addrsig
	.addrsig_sym __hip_cuid_dc5ec628ac57d774
	.amdgpu_metadata
---
amdhsa.kernels:
  - .args:
      - .actual_access:  read_only
        .address_space:  global
        .offset:         0
        .size:           8
        .value_kind:     global_buffer
      - .offset:         8
        .size:           8
        .value_kind:     by_value
      - .actual_access:  read_only
        .address_space:  global
        .offset:         16
        .size:           8
        .value_kind:     global_buffer
      - .actual_access:  read_only
        .address_space:  global
        .offset:         24
        .size:           8
        .value_kind:     global_buffer
      - .actual_access:  read_only
        .address_space:  global
        .offset:         32
        .size:           8
        .value_kind:     global_buffer
      - .offset:         40
        .size:           8
        .value_kind:     by_value
      - .actual_access:  read_only
        .address_space:  global
        .offset:         48
        .size:           8
        .value_kind:     global_buffer
      - .actual_access:  read_only
        .address_space:  global
        .offset:         56
        .size:           8
        .value_kind:     global_buffer
      - .offset:         64
        .size:           4
        .value_kind:     by_value
      - .actual_access:  read_only
        .address_space:  global
        .offset:         72
        .size:           8
        .value_kind:     global_buffer
      - .actual_access:  read_only
        .address_space:  global
        .offset:         80
        .size:           8
        .value_kind:     global_buffer
      - .actual_access:  read_only
        .address_space:  global
        .offset:         88
        .size:           8
        .value_kind:     global_buffer
      - .actual_access:  write_only
        .address_space:  global
        .offset:         96
        .size:           8
        .value_kind:     global_buffer
    .group_segment_fixed_size: 0
    .kernarg_segment_align: 8
    .kernarg_segment_size: 104
    .language:       OpenCL C
    .language_version:
      - 2
      - 0
    .max_flat_workgroup_size: 120
    .name:           fft_rtc_back_len288_factors_6_6_4_2_wgs_120_tpt_24_halfLds_half_op_CI_CI_unitstride_sbrr_R2C_dirReg
    .private_segment_fixed_size: 0
    .sgpr_count:     32
    .sgpr_spill_count: 0
    .symbol:         fft_rtc_back_len288_factors_6_6_4_2_wgs_120_tpt_24_halfLds_half_op_CI_CI_unitstride_sbrr_R2C_dirReg.kd
    .uniform_work_group_size: 1
    .uses_dynamic_stack: false
    .vgpr_count:     61
    .vgpr_spill_count: 0
    .wavefront_size: 64
amdhsa.target:   amdgcn-amd-amdhsa--gfx906
amdhsa.version:
  - 1
  - 2
...

	.end_amdgpu_metadata
